;; amdgpu-corpus repo=ROCm/rocFFT kind=compiled arch=gfx950 opt=O3
	.text
	.amdgcn_target "amdgcn-amd-amdhsa--gfx950"
	.amdhsa_code_object_version 6
	.protected	fft_rtc_back_len416_factors_13_2_16_wgs_64_tpt_32_sp_ip_CI_sbrr_dirReg ; -- Begin function fft_rtc_back_len416_factors_13_2_16_wgs_64_tpt_32_sp_ip_CI_sbrr_dirReg
	.globl	fft_rtc_back_len416_factors_13_2_16_wgs_64_tpt_32_sp_ip_CI_sbrr_dirReg
	.p2align	8
	.type	fft_rtc_back_len416_factors_13_2_16_wgs_64_tpt_32_sp_ip_CI_sbrr_dirReg,@function
fft_rtc_back_len416_factors_13_2_16_wgs_64_tpt_32_sp_ip_CI_sbrr_dirReg: ; @fft_rtc_back_len416_factors_13_2_16_wgs_64_tpt_32_sp_ip_CI_sbrr_dirReg
; %bb.0:
	s_load_dwordx2 s[12:13], s[0:1], 0x18
	s_load_dwordx4 s[4:7], s[0:1], 0x0
	s_load_dwordx2 s[10:11], s[0:1], 0x50
	v_lshrrev_b32_e32 v1, 5, v0
	v_lshl_or_b32 v6, s2, 1, v1
	s_waitcnt lgkmcnt(0)
	s_load_dwordx2 s[8:9], s[12:13], 0x0
	v_mov_b32_e32 v4, 0
	v_cmp_lt_u64_e64 s[2:3], s[6:7], 2
	v_mov_b32_e32 v7, v4
	s_and_b64 vcc, exec, s[2:3]
	v_mov_b64_e32 v[2:3], 0
	s_cbranch_vccnz .LBB0_8
; %bb.1:
	s_load_dwordx2 s[2:3], s[0:1], 0x10
	s_add_u32 s14, s12, 8
	s_addc_u32 s15, s13, 0
	s_mov_b64 s[16:17], 1
	v_mov_b64_e32 v[2:3], 0
	s_waitcnt lgkmcnt(0)
	s_add_u32 s18, s2, 8
	s_addc_u32 s19, s3, 0
.LBB0_2:                                ; =>This Inner Loop Header: Depth=1
	s_load_dwordx2 s[20:21], s[18:19], 0x0
                                        ; implicit-def: $vgpr8_vgpr9
	s_waitcnt lgkmcnt(0)
	v_or_b32_e32 v5, s21, v7
	v_cmp_ne_u64_e32 vcc, 0, v[4:5]
	s_and_saveexec_b64 s[2:3], vcc
	s_xor_b64 s[22:23], exec, s[2:3]
	s_cbranch_execz .LBB0_4
; %bb.3:                                ;   in Loop: Header=BB0_2 Depth=1
	v_cvt_f32_u32_e32 v1, s20
	v_cvt_f32_u32_e32 v5, s21
	s_sub_u32 s2, 0, s20
	s_subb_u32 s3, 0, s21
	v_fmac_f32_e32 v1, 0x4f800000, v5
	v_rcp_f32_e32 v1, v1
	s_nop 0
	v_mul_f32_e32 v1, 0x5f7ffffc, v1
	v_mul_f32_e32 v5, 0x2f800000, v1
	v_trunc_f32_e32 v5, v5
	v_fmac_f32_e32 v1, 0xcf800000, v5
	v_cvt_u32_f32_e32 v5, v5
	v_cvt_u32_f32_e32 v1, v1
	v_mul_lo_u32 v8, s2, v5
	v_mul_hi_u32 v10, s2, v1
	v_mul_lo_u32 v9, s3, v1
	v_add_u32_e32 v10, v10, v8
	v_mul_lo_u32 v12, s2, v1
	v_add_u32_e32 v13, v10, v9
	v_mul_hi_u32 v8, v1, v12
	v_mul_hi_u32 v11, v1, v13
	v_mul_lo_u32 v10, v1, v13
	v_mov_b32_e32 v9, v4
	v_lshl_add_u64 v[8:9], v[8:9], 0, v[10:11]
	v_mul_hi_u32 v11, v5, v12
	v_mul_lo_u32 v12, v5, v12
	v_add_co_u32_e32 v8, vcc, v8, v12
	v_mul_hi_u32 v10, v5, v13
	s_nop 0
	v_addc_co_u32_e32 v8, vcc, v9, v11, vcc
	v_mov_b32_e32 v9, v4
	s_nop 0
	v_addc_co_u32_e32 v11, vcc, 0, v10, vcc
	v_mul_lo_u32 v10, v5, v13
	v_lshl_add_u64 v[8:9], v[8:9], 0, v[10:11]
	v_add_co_u32_e32 v1, vcc, v1, v8
	v_mul_lo_u32 v10, s2, v1
	s_nop 0
	v_addc_co_u32_e32 v5, vcc, v5, v9, vcc
	v_mul_lo_u32 v8, s2, v5
	v_mul_hi_u32 v9, s2, v1
	v_add_u32_e32 v8, v9, v8
	v_mul_lo_u32 v9, s3, v1
	v_add_u32_e32 v12, v8, v9
	v_mul_hi_u32 v14, v5, v10
	v_mul_lo_u32 v15, v5, v10
	v_mul_hi_u32 v9, v1, v12
	v_mul_lo_u32 v8, v1, v12
	v_mul_hi_u32 v10, v1, v10
	v_mov_b32_e32 v11, v4
	v_lshl_add_u64 v[8:9], v[10:11], 0, v[8:9]
	v_add_co_u32_e32 v8, vcc, v8, v15
	v_mul_hi_u32 v13, v5, v12
	s_nop 0
	v_addc_co_u32_e32 v8, vcc, v9, v14, vcc
	v_mul_lo_u32 v10, v5, v12
	s_nop 0
	v_addc_co_u32_e32 v11, vcc, 0, v13, vcc
	v_mov_b32_e32 v9, v4
	v_lshl_add_u64 v[8:9], v[8:9], 0, v[10:11]
	v_add_co_u32_e32 v1, vcc, v1, v8
	v_mul_hi_u32 v10, v6, v1
	s_nop 0
	v_addc_co_u32_e32 v5, vcc, v5, v9, vcc
	v_mad_u64_u32 v[8:9], s[2:3], v6, v5, 0
	v_mov_b32_e32 v11, v4
	v_lshl_add_u64 v[8:9], v[10:11], 0, v[8:9]
	v_mad_u64_u32 v[12:13], s[2:3], v7, v1, 0
	v_add_co_u32_e32 v1, vcc, v8, v12
	v_mad_u64_u32 v[10:11], s[2:3], v7, v5, 0
	s_nop 0
	v_addc_co_u32_e32 v8, vcc, v9, v13, vcc
	v_mov_b32_e32 v9, v4
	s_nop 0
	v_addc_co_u32_e32 v11, vcc, 0, v11, vcc
	v_lshl_add_u64 v[8:9], v[8:9], 0, v[10:11]
	v_mul_lo_u32 v1, s21, v8
	v_mul_lo_u32 v5, s20, v9
	v_mad_u64_u32 v[10:11], s[2:3], s20, v8, 0
	v_add3_u32 v1, v11, v5, v1
	v_sub_u32_e32 v5, v7, v1
	v_mov_b32_e32 v11, s21
	v_sub_co_u32_e32 v14, vcc, v6, v10
	v_lshl_add_u64 v[12:13], v[8:9], 0, 1
	s_nop 0
	v_subb_co_u32_e64 v5, s[2:3], v5, v11, vcc
	v_subrev_co_u32_e64 v10, s[2:3], s20, v14
	v_subb_co_u32_e32 v1, vcc, v7, v1, vcc
	s_nop 0
	v_subbrev_co_u32_e64 v5, s[2:3], 0, v5, s[2:3]
	v_cmp_le_u32_e64 s[2:3], s21, v5
	v_cmp_le_u32_e32 vcc, s21, v1
	s_nop 0
	v_cndmask_b32_e64 v11, 0, -1, s[2:3]
	v_cmp_le_u32_e64 s[2:3], s20, v10
	s_nop 1
	v_cndmask_b32_e64 v10, 0, -1, s[2:3]
	v_cmp_eq_u32_e64 s[2:3], s21, v5
	s_nop 1
	v_cndmask_b32_e64 v5, v11, v10, s[2:3]
	v_lshl_add_u64 v[10:11], v[8:9], 0, 2
	v_cmp_ne_u32_e64 s[2:3], 0, v5
	s_nop 1
	v_cndmask_b32_e64 v5, v13, v11, s[2:3]
	v_cndmask_b32_e64 v11, 0, -1, vcc
	v_cmp_le_u32_e32 vcc, s20, v14
	s_nop 1
	v_cndmask_b32_e64 v13, 0, -1, vcc
	v_cmp_eq_u32_e32 vcc, s21, v1
	s_nop 1
	v_cndmask_b32_e32 v1, v11, v13, vcc
	v_cmp_ne_u32_e32 vcc, 0, v1
	v_cndmask_b32_e64 v1, v12, v10, s[2:3]
	s_nop 0
	v_cndmask_b32_e32 v9, v9, v5, vcc
	v_cndmask_b32_e32 v8, v8, v1, vcc
.LBB0_4:                                ;   in Loop: Header=BB0_2 Depth=1
	s_andn2_saveexec_b64 s[2:3], s[22:23]
	s_cbranch_execz .LBB0_6
; %bb.5:                                ;   in Loop: Header=BB0_2 Depth=1
	v_cvt_f32_u32_e32 v1, s20
	s_sub_i32 s22, 0, s20
	v_rcp_iflag_f32_e32 v1, v1
	s_nop 0
	v_mul_f32_e32 v1, 0x4f7ffffe, v1
	v_cvt_u32_f32_e32 v1, v1
	v_mul_lo_u32 v5, s22, v1
	v_mul_hi_u32 v5, v1, v5
	v_add_u32_e32 v1, v1, v5
	v_mul_hi_u32 v1, v6, v1
	v_mul_lo_u32 v5, v1, s20
	v_sub_u32_e32 v5, v6, v5
	v_add_u32_e32 v8, 1, v1
	v_subrev_u32_e32 v9, s20, v5
	v_cmp_le_u32_e32 vcc, s20, v5
	s_nop 1
	v_cndmask_b32_e32 v5, v5, v9, vcc
	v_cndmask_b32_e32 v1, v1, v8, vcc
	v_add_u32_e32 v8, 1, v1
	v_cmp_le_u32_e32 vcc, s20, v5
	v_mov_b32_e32 v9, v4
	s_nop 0
	v_cndmask_b32_e32 v8, v1, v8, vcc
.LBB0_6:                                ;   in Loop: Header=BB0_2 Depth=1
	s_or_b64 exec, exec, s[2:3]
	v_mad_u64_u32 v[10:11], s[2:3], v8, s20, 0
	s_load_dwordx2 s[2:3], s[14:15], 0x0
	v_mul_lo_u32 v1, v9, s20
	v_mul_lo_u32 v5, v8, s21
	v_add3_u32 v1, v11, v5, v1
	v_sub_co_u32_e32 v5, vcc, v6, v10
	s_add_u32 s16, s16, 1
	s_nop 0
	v_subb_co_u32_e32 v1, vcc, v7, v1, vcc
	s_addc_u32 s17, s17, 0
	s_waitcnt lgkmcnt(0)
	v_mul_lo_u32 v1, s2, v1
	v_mul_lo_u32 v6, s3, v5
	v_mad_u64_u32 v[2:3], s[2:3], s2, v5, v[2:3]
	s_add_u32 s14, s14, 8
	v_add3_u32 v3, v6, v3, v1
	s_addc_u32 s15, s15, 0
	v_mov_b64_e32 v[6:7], s[6:7]
	s_add_u32 s18, s18, 8
	v_cmp_ge_u64_e32 vcc, s[16:17], v[6:7]
	s_addc_u32 s19, s19, 0
	s_cbranch_vccnz .LBB0_9
; %bb.7:                                ;   in Loop: Header=BB0_2 Depth=1
	v_mov_b64_e32 v[6:7], v[8:9]
	s_branch .LBB0_2
.LBB0_8:
	v_mov_b64_e32 v[8:9], v[6:7]
.LBB0_9:
	s_lshl_b64 s[2:3], s[6:7], 3
	s_add_u32 s2, s12, s2
	s_addc_u32 s3, s13, s3
	s_load_dwordx2 s[6:7], s[2:3], 0x0
	s_load_dwordx2 s[12:13], s[0:1], 0x20
	v_and_b32_e32 v96, 31, v0
	v_or_b32_e32 v97, 32, v96
	v_or_b32_e32 v98, 64, v96
	s_waitcnt lgkmcnt(0)
	v_mul_lo_u32 v1, s6, v9
	v_mul_lo_u32 v6, s7, v8
	v_mad_u64_u32 v[4:5], s[0:1], s6, v8, v[2:3]
	v_add3_u32 v5, v6, v5, v1
	v_cmp_gt_u64_e32 vcc, s[12:13], v[8:9]
	v_cmp_le_u64_e64 s[0:1], s[12:13], v[8:9]
                                        ; implicit-def: $sgpr2_sgpr3
                                        ; implicit-def: $vgpr99
                                        ; implicit-def: $vgpr101
                                        ; implicit-def: $vgpr100
                                        ; implicit-def: $vgpr102
	s_and_saveexec_b64 s[6:7], s[0:1]
	s_xor_b64 s[0:1], exec, s[6:7]
; %bb.10:
	v_or_b32_e32 v97, 32, v96
	v_or_b32_e32 v98, 64, v96
	v_or_b32_e32 v99, 0x60, v96
	v_or_b32_e32 v101, 0x80, v96
	v_or_b32_e32 v100, 0xa0, v96
	v_or_b32_e32 v102, 0xc0, v96
	s_mov_b64 s[2:3], 0
; %bb.11:
	s_or_saveexec_b64 s[0:1], s[0:1]
	v_mov_b64_e32 v[2:3], s[2:3]
	v_lshl_add_u64 v[28:29], v[4:5], 3, s[10:11]
                                        ; implicit-def: $vgpr10
                                        ; implicit-def: $vgpr16
                                        ; implicit-def: $vgpr18
                                        ; implicit-def: $vgpr44
                                        ; implicit-def: $vgpr20
                                        ; implicit-def: $vgpr46
                                        ; implicit-def: $vgpr8
                                        ; implicit-def: $vgpr32
                                        ; implicit-def: $vgpr22
                                        ; implicit-def: $vgpr48
                                        ; implicit-def: $vgpr50
                                        ; implicit-def: $vgpr6
	s_xor_b64 exec, exec, s[0:1]
	s_cbranch_execz .LBB0_13
; %bb.12:
	v_mad_u64_u32 v[2:3], s[2:3], s8, v96, 0
	v_mov_b32_e32 v4, v3
	v_mad_u64_u32 v[4:5], s[2:3], s9, v96, v[4:5]
	v_mov_b32_e32 v3, v4
	v_lshl_add_u64 v[4:5], v[2:3], 3, v[28:29]
	v_mad_u64_u32 v[2:3], s[2:3], s8, v97, 0
	v_mov_b32_e32 v6, v3
	v_mad_u64_u32 v[6:7], s[2:3], s9, v97, v[6:7]
	v_mov_b32_e32 v3, v6
	v_lshl_add_u64 v[10:11], v[2:3], 3, v[28:29]
	v_mad_u64_u32 v[2:3], s[2:3], s8, v98, 0
	v_mov_b32_e32 v6, v3
	v_mad_u64_u32 v[6:7], s[2:3], s9, v98, v[6:7]
	v_mov_b32_e32 v3, v6
	v_or_b32_e32 v99, 0x60, v96
	v_lshl_add_u64 v[12:13], v[2:3], 3, v[28:29]
	v_mad_u64_u32 v[2:3], s[2:3], s8, v99, 0
	v_mov_b32_e32 v6, v3
	v_mad_u64_u32 v[6:7], s[2:3], s9, v99, v[6:7]
	v_mov_b32_e32 v3, v6
	v_or_b32_e32 v101, 0x80, v96
	v_lshl_add_u64 v[14:15], v[2:3], 3, v[28:29]
	global_load_dwordx2 v[2:3], v[4:5], off
	global_load_dwordx2 v[50:51], v[10:11], off
	;; [unrolled: 1-line block ×4, first 2 shown]
	v_mad_u64_u32 v[4:5], s[2:3], s8, v101, 0
	v_mov_b32_e32 v10, v5
	v_mad_u64_u32 v[10:11], s[2:3], s9, v101, v[10:11]
	v_or_b32_e32 v100, 0xa0, v96
	v_mov_b32_e32 v5, v10
	v_mad_u64_u32 v[10:11], s[2:3], s8, v100, 0
	v_mov_b32_e32 v12, v11
	v_mad_u64_u32 v[12:13], s[2:3], s9, v100, v[12:13]
	v_mov_b32_e32 v11, v12
	v_or_b32_e32 v102, 0xc0, v96
	v_lshl_add_u64 v[12:13], v[10:11], 3, v[28:29]
	v_mad_u64_u32 v[10:11], s[2:3], s8, v102, 0
	v_mov_b32_e32 v14, v11
	v_mad_u64_u32 v[14:15], s[2:3], s9, v102, v[14:15]
	v_mov_b32_e32 v11, v14
	v_or_b32_e32 v1, 0xe0, v96
	v_lshl_add_u64 v[14:15], v[10:11], 3, v[28:29]
	;; [unrolled: 6-line block ×4, first 2 shown]
	v_mad_u64_u32 v[10:11], s[2:3], s8, v1, 0
	v_mov_b32_e32 v16, v11
	v_mad_u64_u32 v[16:17], s[2:3], s9, v1, v[16:17]
	v_lshl_add_u64 v[4:5], v[4:5], 3, v[28:29]
	v_mov_b32_e32 v11, v16
	v_or_b32_e32 v1, 0x140, v96
	v_lshl_add_u64 v[26:27], v[10:11], 3, v[28:29]
	global_load_dwordx2 v[20:21], v[4:5], off
	global_load_dwordx2 v[18:19], v[12:13], off
	;; [unrolled: 1-line block ×4, first 2 shown]
	v_mad_u64_u32 v[4:5], s[2:3], s8, v1, 0
	v_mov_b32_e32 v12, v5
	v_mad_u64_u32 v[12:13], s[2:3], s9, v1, v[12:13]
	v_or_b32_e32 v1, 0x160, v96
	v_mov_b32_e32 v5, v12
	v_mad_u64_u32 v[12:13], s[2:3], s8, v1, 0
	v_mov_b32_e32 v14, v13
	v_mad_u64_u32 v[14:15], s[2:3], s9, v1, v[14:15]
	v_or_b32_e32 v1, 0x180, v96
	v_mov_b32_e32 v13, v14
	v_mad_u64_u32 v[14:15], s[2:3], s8, v1, 0
	v_mov_b32_e32 v22, v15
	v_mad_u64_u32 v[22:23], s[2:3], s9, v1, v[22:23]
	v_mov_b32_e32 v15, v22
	v_lshl_add_u64 v[4:5], v[4:5], 3, v[28:29]
	v_lshl_add_u64 v[12:13], v[12:13], 3, v[28:29]
	;; [unrolled: 1-line block ×3, first 2 shown]
	global_load_dwordx2 v[44:45], v[24:25], off
	global_load_dwordx2 v[46:47], v[26:27], off
	;; [unrolled: 1-line block ×5, first 2 shown]
.LBB0_13:
	s_or_b64 exec, exec, s[0:1]
	s_waitcnt vmcnt(0)
	v_pk_add_f32 v[4:5], v[50:51], v[22:23]
	v_pk_add_f32 v[52:53], v[50:51], v[22:23] neg_lo:[0,1] neg_hi:[0,1]
	v_pk_add_f32 v[50:51], v[50:51], v[2:3]
	v_pk_add_f32 v[34:35], v[8:9], v[32:33]
	;; [unrolled: 1-line block ×3, first 2 shown]
	v_pk_add_f32 v[40:41], v[8:9], v[32:33] neg_lo:[0,1] neg_hi:[0,1]
	v_pk_add_f32 v[8:9], v[8:9], v[50:51]
	v_pk_add_f32 v[24:25], v[18:19], v[44:45]
	;; [unrolled: 1-line block ×3, first 2 shown]
	v_pk_add_f32 v[30:31], v[18:19], v[44:45] neg_lo:[0,1] neg_hi:[0,1]
	v_pk_add_f32 v[18:19], v[18:19], v[8:9]
	v_pk_add_f32 v[42:43], v[6:7], v[48:49] neg_lo:[0,1] neg_hi:[0,1]
	s_mov_b32 s24, 0xbf52af12
	v_pk_add_f32 v[18:19], v[10:11], v[18:19]
	v_pk_add_f32 v[38:39], v[6:7], v[48:49]
	;; [unrolled: 1-line block ×3, first 2 shown]
	v_pk_add_f32 v[36:37], v[20:21], v[46:47] neg_lo:[0,1] neg_hi:[0,1]
	v_pk_add_f32 v[12:13], v[10:11], v[16:17]
	v_pk_add_f32 v[14:15], v[10:11], v[16:17] neg_lo:[0,1] neg_hi:[0,1]
	s_mov_b32 s0, 0xbeedf032
	s_mov_b32 s2, 0x3f116cb1
	v_pk_mul_f32 v[20:21], v[42:43], s[24:25] op_sel_hi:[1,0]
	v_pk_add_f32 v[16:17], v[16:17], v[18:19]
	s_mov_b32 s12, 0x3f62ad3f
	v_pk_mul_f32 v[54:55], v[52:53], s[0:1] op_sel:[1,0] op_sel_hi:[0,0]
	v_pk_fma_f32 v[50:51], v[38:39], s[2:3], v[20:21] op_sel:[0,0,1] op_sel_hi:[1,0,0]
	v_pk_fma_f32 v[8:9], v[38:39], s[2:3], v[20:21] op_sel:[0,0,1] op_sel_hi:[1,0,0] neg_lo:[0,0,1] neg_hi:[0,0,1]
	v_pk_add_f32 v[20:21], v[44:45], v[16:17]
	v_pk_fma_f32 v[56:57], v[4:5], s[12:13], v[54:55] op_sel_hi:[1,0,1]
	v_pk_fma_f32 v[6:7], v[4:5], s[12:13], v[54:55] op_sel_hi:[1,0,1] neg_lo:[0,0,1] neg_hi:[0,0,1]
	s_mov_b32 s26, 0xbf7e222b
	v_pk_add_f32 v[20:21], v[46:47], v[20:21]
	s_mov_b32 s18, 0xbf6f5d39
	v_mov_b32_e32 v1, v57
	s_mov_b32 s6, 0x3df6dbef
	v_pk_mul_f32 v[18:19], v[40:41], s[26:27] op_sel_hi:[1,0]
	s_mov_b32 s10, 0xbeb58ec6
	v_pk_add_f32 v[20:21], v[32:33], v[20:21]
	v_pk_mul_f32 v[32:33], v[36:37], s[18:19] op_sel_hi:[1,0]
	v_mov_b32_e32 v57, v7
	v_mov_b32_e32 v11, v51
	v_pk_fma_f32 v[44:45], v[34:35], s[6:7], v[18:19] op_sel:[0,0,1] op_sel_hi:[1,0,0]
	v_pk_fma_f32 v[16:17], v[34:35], s[6:7], v[18:19] op_sel:[0,0,1] op_sel_hi:[1,0,0] neg_lo:[0,0,1] neg_hi:[0,0,1]
	v_pk_add_f32 v[46:47], v[48:49], v[20:21]
	v_pk_fma_f32 v[48:49], v[26:27], s[10:11], v[32:33] op_sel:[0,0,1] op_sel_hi:[1,0,0]
	v_pk_fma_f32 v[20:21], v[26:27], s[10:11], v[32:33] op_sel:[0,0,1] op_sel_hi:[1,0,0] neg_lo:[0,0,1] neg_hi:[0,0,1]
	s_mov_b32 s20, 0xbf29c268
	v_pk_add_f32 v[32:33], v[56:57], v[2:3]
	v_mov_b32_e32 v51, v9
	v_mov_b32_e32 v19, v45
	s_mov_b32 s14, 0xbf3f9e67
	v_pk_add_f32 v[32:33], v[50:51], v[32:33]
	v_pk_mul_f32 v[50:51], v[30:31], s[20:21] op_sel_hi:[1,0]
	v_mov_b32_e32 v45, v17
	v_pk_add_f32 v[46:47], v[22:23], v[46:47]
	v_mov_b32_e32 v23, v49
	v_pk_add_f32 v[44:45], v[44:45], v[32:33]
	v_pk_fma_f32 v[54:55], v[24:25], s[14:15], v[50:51] op_sel:[0,0,1] op_sel_hi:[1,0,0]
	v_pk_fma_f32 v[32:33], v[24:25], s[14:15], v[50:51] op_sel:[0,0,1] op_sel_hi:[1,0,0] neg_lo:[0,0,1] neg_hi:[0,0,1]
	v_mov_b32_e32 v49, v21
	v_pk_add_f32 v[44:45], v[48:49], v[44:45]
	v_mov_b32_e32 v7, v55
	s_mov_b32 s22, 0xbe750f2a
	v_mov_b32_e32 v55, v33
	v_and_b32_e32 v0, 32, v0
	s_mov_b32 s16, 0xbf788fa5
	v_pk_add_f32 v[48:49], v[54:55], v[44:45]
	v_pk_mul_f32 v[44:45], v[14:15], s[22:23] op_sel_hi:[1,0]
	v_mov_b32_e32 v10, 0x1a0
	v_cmp_ne_u32_e64 s[0:1], 0, v0
	v_pk_fma_f32 v[50:51], v[12:13], s[16:17], v[44:45] op_sel:[0,0,1] op_sel_hi:[1,0,0]
	v_pk_fma_f32 v[44:45], v[12:13], s[16:17], v[44:45] op_sel:[0,0,1] op_sel_hi:[1,0,0] neg_lo:[0,0,1] neg_hi:[0,0,1]
	v_cndmask_b32_e64 v33, 0, v10, s[0:1]
	v_mov_b32_e32 v9, v51
	v_mov_b32_e32 v51, v45
	s_movk_i32 s0, 0x68
	v_lshl_add_u32 v17, v33, 3, 0
	v_mov_b32_e32 v94, v53
	v_mov_b32_e32 v95, v5
	s_mov_b32 s25, s2
	v_pk_add_f32 v[48:49], v[50:51], v[48:49]
	v_mad_u32_u24 v21, v96, s0, v17
	v_mov_b32_e32 v5, v52
	s_mov_b32 s3, s24
	v_pk_mul_f32 v[50:51], v[94:95], s[24:25]
	ds_write2_b64 v21, v[46:47], v[48:49] offset1:1
	v_pk_fma_f32 v[48:49], v[4:5], s[2:3], v[50:51]
	v_pk_fma_f32 v[54:55], v[4:5], s[2:3], v[50:51] neg_lo:[1,0,0] neg_hi:[1,0,0]
	v_pk_mul_f32 v[46:47], v[42:43], s[18:19] op_sel_hi:[1,0]
	v_mov_b32_e32 v54, v48
	v_pk_fma_f32 v[52:53], v[38:39], s[10:11], v[46:47] op_sel:[0,0,1] op_sel_hi:[1,0,0]
	v_pk_fma_f32 v[46:47], v[38:39], s[10:11], v[46:47] op_sel:[0,0,1] op_sel_hi:[1,0,0] neg_lo:[0,0,1] neg_hi:[0,0,1]
	v_mov_b32_e32 v56, v52
	v_mov_b32_e32 v57, v47
	v_pk_add_f32 v[54:55], v[54:55], v[2:3]
	s_mov_b32 s30, 0x3f29c268
	v_pk_add_f32 v[58:59], v[56:57], v[54:55]
	v_pk_mul_f32 v[54:55], v[40:41], s[22:23] op_sel_hi:[1,0]
	s_mov_b32 s0, 0x3f7e222b
	v_pk_fma_f32 v[56:57], v[34:35], s[16:17], v[54:55] op_sel:[0,0,1] op_sel_hi:[1,0,0]
	v_pk_fma_f32 v[54:55], v[34:35], s[16:17], v[54:55] op_sel:[0,0,1] op_sel_hi:[1,0,0] neg_lo:[0,0,1] neg_hi:[0,0,1]
	v_mov_b32_e32 v60, v56
	v_mov_b32_e32 v61, v55
	v_pk_add_f32 v[62:63], v[60:61], v[58:59]
	v_pk_mul_f32 v[58:59], v[36:37], s[30:31] op_sel_hi:[1,0]
	s_mov_b32 s28, 0x3eedf032
	v_pk_fma_f32 v[60:61], v[26:27], s[14:15], v[58:59] op_sel:[0,0,1] op_sel_hi:[1,0,0]
	v_pk_fma_f32 v[58:59], v[26:27], s[14:15], v[58:59] op_sel:[0,0,1] op_sel_hi:[1,0,0] neg_lo:[0,0,1] neg_hi:[0,0,1]
	v_mov_b32_e32 v64, v60
	v_mov_b32_e32 v65, v59
	;; [unrolled: 7-line block ×4, first 2 shown]
	v_pk_mul_f32 v[74:75], v[94:95], s[26:27]
	v_pk_add_f32 v[104:105], v[72:73], v[70:71]
	v_pk_fma_f32 v[72:73], v[4:5], s[6:7], v[74:75]
	v_pk_fma_f32 v[78:79], v[4:5], s[6:7], v[74:75] neg_lo:[1,0,0] neg_hi:[1,0,0]
	v_pk_mul_f32 v[70:71], v[42:43], s[22:23] op_sel_hi:[1,0]
	v_mov_b32_e32 v78, v72
	v_pk_fma_f32 v[76:77], v[38:39], s[16:17], v[70:71] op_sel:[0,0,1] op_sel_hi:[1,0,0]
	v_pk_fma_f32 v[70:71], v[38:39], s[16:17], v[70:71] op_sel:[0,0,1] op_sel_hi:[1,0,0] neg_lo:[0,0,1] neg_hi:[0,0,1]
	v_mov_b32_e32 v80, v76
	v_mov_b32_e32 v81, v71
	v_pk_add_f32 v[78:79], v[78:79], v[2:3]
	s_mov_b32 s34, 0x3f6f5d39
	v_pk_add_f32 v[80:81], v[80:81], v[78:79]
	v_pk_mul_f32 v[78:79], v[40:41], s[34:35] op_sel_hi:[1,0]
	s_mov_b32 s19, s10
	v_pk_fma_f32 v[82:83], v[34:35], s[10:11], v[78:79] op_sel:[0,0,1] op_sel_hi:[1,0,0]
	v_pk_fma_f32 v[78:79], v[34:35], s[10:11], v[78:79] op_sel:[0,0,1] op_sel_hi:[1,0,0] neg_lo:[0,0,1] neg_hi:[0,0,1]
	v_mov_b32_e32 v84, v82
	v_mov_b32_e32 v85, v79
	v_pk_add_f32 v[86:87], v[84:85], v[80:81]
	v_pk_mul_f32 v[80:81], v[36:37], s[28:29] op_sel_hi:[1,0]
	s_mov_b32 s11, s18
	v_pk_fma_f32 v[84:85], v[26:27], s[12:13], v[80:81] op_sel:[0,0,1] op_sel_hi:[1,0,0]
	v_pk_fma_f32 v[80:81], v[26:27], s[12:13], v[80:81] op_sel:[0,0,1] op_sel_hi:[1,0,0] neg_lo:[0,0,1] neg_hi:[0,0,1]
	v_mov_b32_e32 v88, v84
	v_mov_b32_e32 v89, v81
	v_pk_add_f32 v[88:89], v[88:89], v[86:87]
	v_pk_mul_f32 v[86:87], v[30:31], s[24:25] op_sel_hi:[1,0]
	v_pk_mul_f32 v[110:111], v[42:43], s[30:31] op_sel_hi:[1,0]
	v_pk_fma_f32 v[92:93], v[24:25], s[2:3], v[86:87] op_sel:[0,0,1] op_sel_hi:[1,0,0]
	v_pk_fma_f32 v[86:87], v[24:25], s[2:3], v[86:87] op_sel:[0,0,1] op_sel_hi:[1,0,0] neg_lo:[0,0,1] neg_hi:[0,0,1]
	v_mov_b32_e32 v90, v92
	v_mov_b32_e32 v91, v87
	v_pk_add_f32 v[106:107], v[90:91], v[88:89]
	v_pk_mul_f32 v[90:91], v[14:15], s[20:21] op_sel_hi:[1,0]
	v_pk_fma_f32 v[112:113], v[38:39], s[14:15], v[110:111] op_sel:[0,0,1] op_sel_hi:[1,0,0]
	v_pk_fma_f32 v[88:89], v[12:13], s[14:15], v[90:91] op_sel:[0,0,1] op_sel_hi:[1,0,0]
	v_pk_fma_f32 v[90:91], v[12:13], s[14:15], v[90:91] op_sel:[0,0,1] op_sel_hi:[1,0,0] neg_lo:[0,0,1] neg_hi:[0,0,1]
	v_mov_b32_e32 v108, v88
	v_mov_b32_e32 v109, v91
	v_pk_add_f32 v[106:107], v[108:109], v[106:107]
	ds_write2_b64 v21, v[104:105], v[106:107] offset0:2 offset1:3
	v_pk_mul_f32 v[104:105], v[94:95], s[18:19]
	v_pk_fma_f32 v[110:111], v[38:39], s[14:15], v[110:111] op_sel:[0,0,1] op_sel_hi:[1,0,0] neg_lo:[0,0,1] neg_hi:[0,0,1]
	v_pk_fma_f32 v[106:107], v[4:5], s[10:11], v[104:105]
	v_pk_fma_f32 v[108:109], v[4:5], s[10:11], v[104:105] neg_lo:[1,0,0] neg_hi:[1,0,0]
	v_mov_b32_e32 v114, v112
	v_mov_b32_e32 v108, v106
	;; [unrolled: 1-line block ×3, first 2 shown]
	v_pk_add_f32 v[108:109], v[108:109], v[2:3]
	s_mov_b32 s30, 0x3f52af12
	v_pk_add_f32 v[108:109], v[114:115], v[108:109]
	v_pk_mul_f32 v[114:115], v[40:41], s[28:29] op_sel_hi:[1,0]
	s_mov_b32 s21, s14
	v_pk_fma_f32 v[116:117], v[34:35], s[12:13], v[114:115] op_sel:[0,0,1] op_sel_hi:[1,0,0]
	v_pk_fma_f32 v[114:115], v[34:35], s[12:13], v[114:115] op_sel:[0,0,1] op_sel_hi:[1,0,0] neg_lo:[0,0,1] neg_hi:[0,0,1]
	v_mov_b32_e32 v118, v116
	v_mov_b32_e32 v119, v115
	v_pk_add_f32 v[108:109], v[118:119], v[108:109]
	v_pk_mul_f32 v[118:119], v[36:37], s[26:27] op_sel_hi:[1,0]
	s_mov_b32 s26, 0x3e750f2a
	v_pk_fma_f32 v[120:121], v[26:27], s[6:7], v[118:119] op_sel:[0,0,1] op_sel_hi:[1,0,0]
	v_pk_fma_f32 v[118:119], v[26:27], s[6:7], v[118:119] op_sel:[0,0,1] op_sel_hi:[1,0,0] neg_lo:[0,0,1] neg_hi:[0,0,1]
	v_mov_b32_e32 v122, v120
	v_mov_b32_e32 v123, v119
	;; [unrolled: 7-line block ×3, first 2 shown]
	v_pk_add_f32 v[108:109], v[126:127], v[108:109]
	v_pk_mul_f32 v[126:127], v[14:15], s[30:31] op_sel_hi:[1,0]
	v_pk_mul_f32 v[136:137], v[42:43], s[0:1] op_sel_hi:[1,0]
	v_pk_fma_f32 v[128:129], v[12:13], s[2:3], v[126:127] op_sel:[0,0,1] op_sel_hi:[1,0,0]
	v_pk_fma_f32 v[126:127], v[12:13], s[2:3], v[126:127] op_sel:[0,0,1] op_sel_hi:[1,0,0] neg_lo:[0,0,1] neg_hi:[0,0,1]
	v_mov_b32_e32 v130, v128
	v_mov_b32_e32 v131, v127
	v_pk_add_f32 v[108:109], v[130:131], v[108:109]
	v_pk_mul_f32 v[130:131], v[94:95], s[20:21]
	v_pk_fma_f32 v[138:139], v[38:39], s[6:7], v[136:137] op_sel:[0,0,1] op_sel_hi:[1,0,0]
	v_pk_fma_f32 v[132:133], v[4:5], s[14:15], v[130:131]
	v_pk_fma_f32 v[134:135], v[4:5], s[14:15], v[130:131] neg_lo:[1,0,0] neg_hi:[1,0,0]
	v_pk_fma_f32 v[136:137], v[38:39], s[6:7], v[136:137] op_sel:[0,0,1] op_sel_hi:[1,0,0] neg_lo:[0,0,1] neg_hi:[0,0,1]
	v_mov_b32_e32 v134, v132
	v_mov_b32_e32 v140, v138
	;; [unrolled: 1-line block ×3, first 2 shown]
	v_pk_add_f32 v[134:135], v[134:135], v[2:3]
	v_pk_mul_f32 v[42:43], v[42:43], s[28:29] op_sel_hi:[1,0]
	v_pk_add_f32 v[134:135], v[140:141], v[134:135]
	v_pk_mul_f32 v[140:141], v[40:41], s[24:25] op_sel_hi:[1,0]
	v_pk_mul_f32 v[40:41], v[40:41], s[20:21] op_sel_hi:[1,0]
	v_pk_fma_f32 v[142:143], v[34:35], s[2:3], v[140:141] op_sel:[0,0,1] op_sel_hi:[1,0,0]
	v_pk_fma_f32 v[140:141], v[34:35], s[2:3], v[140:141] op_sel:[0,0,1] op_sel_hi:[1,0,0] neg_lo:[0,0,1] neg_hi:[0,0,1]
	v_mov_b32_e32 v144, v142
	v_mov_b32_e32 v145, v141
	v_pk_add_f32 v[134:135], v[144:145], v[134:135]
	v_pk_mul_f32 v[144:145], v[36:37], s[26:27] op_sel_hi:[1,0]
	v_pk_mul_f32 v[36:37], v[36:37], s[30:31] op_sel_hi:[1,0]
	v_pk_fma_f32 v[146:147], v[26:27], s[16:17], v[144:145] op_sel:[0,0,1] op_sel_hi:[1,0,0]
	v_pk_fma_f32 v[144:145], v[26:27], s[16:17], v[144:145] op_sel:[0,0,1] op_sel_hi:[1,0,0] neg_lo:[0,0,1] neg_hi:[0,0,1]
	v_mov_b32_e32 v148, v146
	v_mov_b32_e32 v149, v145
	;; [unrolled: 7-line block ×3, first 2 shown]
	v_pk_add_f32 v[134:135], v[152:153], v[134:135]
	v_pk_mul_f32 v[152:153], v[14:15], s[18:19] op_sel_hi:[1,0]
	s_mov_b32 s23, s16
	v_pk_fma_f32 v[154:155], v[12:13], s[10:11], v[152:153] op_sel:[0,0,1] op_sel_hi:[1,0,0]
	v_pk_fma_f32 v[152:153], v[12:13], s[10:11], v[152:153] op_sel:[0,0,1] op_sel_hi:[1,0,0] neg_lo:[0,0,1] neg_hi:[0,0,1]
	v_mov_b32_e32 v156, v154
	v_mov_b32_e32 v157, v153
	v_pk_add_f32 v[134:135], v[156:157], v[134:135]
	ds_write2_b64 v21, v[108:109], v[134:135] offset0:4 offset1:5
	v_pk_fma_f32 v[108:109], v[38:39], s[12:13], v[42:43] op_sel:[0,0,1] op_sel_hi:[1,0,0]
	v_pk_fma_f32 v[38:39], v[38:39], s[12:13], v[42:43] op_sel:[0,0,1] op_sel_hi:[1,0,0] neg_lo:[0,0,1] neg_hi:[0,0,1]
	v_pk_fma_f32 v[42:43], v[34:35], s[14:15], v[40:41] op_sel:[0,0,1] op_sel_hi:[1,0,0]
	v_pk_fma_f32 v[34:35], v[34:35], s[14:15], v[40:41] op_sel:[0,0,1] op_sel_hi:[1,0,0] neg_lo:[0,0,1] neg_hi:[0,0,1]
	;; [unrolled: 2-line block ×4, first 2 shown]
	v_pk_mul_f32 v[30:31], v[94:95], s[22:23]
	s_mov_b32 s17, s22
	v_pk_fma_f32 v[94:95], v[4:5], s[16:17], v[30:31]
	v_pk_fma_f32 v[134:135], v[4:5], s[16:17], v[30:31] neg_lo:[1,0,0] neg_hi:[1,0,0]
	v_pk_fma_f32 v[30:31], v[4:5], s[16:17], v[30:31] neg_lo:[0,0,1] neg_hi:[0,0,1]
	v_mov_b32_e32 v134, v94
	v_mov_b32_e32 v156, v108
	;; [unrolled: 1-line block ×3, first 2 shown]
	v_pk_add_f32 v[134:135], v[134:135], v[2:3]
	v_mov_b32_e32 v31, v95
	v_pk_add_f32 v[134:135], v[156:157], v[134:135]
	v_mov_b32_e32 v156, v42
	v_mov_b32_e32 v157, v35
	;; [unrolled: 1-line block ×3, first 2 shown]
	v_pk_add_f32 v[30:31], v[30:31], v[2:3]
	v_pk_add_f32 v[134:135], v[156:157], v[134:135]
	v_mov_b32_e32 v156, v40
	v_mov_b32_e32 v157, v27
	;; [unrolled: 1-line block ×3, first 2 shown]
	v_pk_add_f32 v[30:31], v[38:39], v[30:31]
	v_mov_b32_e32 v0, v6
	v_pk_add_f32 v[134:135], v[156:157], v[134:135]
	v_mov_b32_e32 v156, v36
	v_mov_b32_e32 v157, v25
	v_pk_mul_f32 v[14:15], v[14:15], s[0:1] op_sel_hi:[1,0]
	v_mov_b32_e32 v27, v41
	v_pk_add_f32 v[30:31], v[34:35], v[30:31]
	v_mov_b32_e32 v10, v8
	v_pk_add_f32 v[0:1], v[0:1], v[2:3]
	v_pk_add_f32 v[134:135], v[156:157], v[134:135]
	v_pk_fma_f32 v[156:157], v[12:13], s[6:7], v[14:15] op_sel:[0,0,1] op_sel_hi:[1,0,0]
	v_pk_fma_f32 v[12:13], v[12:13], s[6:7], v[14:15] op_sel:[0,0,1] op_sel_hi:[1,0,0] neg_lo:[0,0,1] neg_hi:[0,0,1]
	v_mov_b32_e32 v25, v37
	v_pk_add_f32 v[26:27], v[26:27], v[30:31]
	v_pk_add_f32 v[0:1], v[10:11], v[0:1]
	v_mov_b32_e32 v18, v16
	v_mov_b32_e32 v14, v156
	;; [unrolled: 1-line block ×3, first 2 shown]
	v_pk_add_f32 v[24:25], v[24:25], v[26:27]
	v_mov_b32_e32 v13, v157
	v_pk_add_f32 v[0:1], v[18:19], v[0:1]
	v_mov_b32_e32 v22, v20
	v_pk_add_f32 v[14:15], v[14:15], v[134:135]
	v_pk_add_f32 v[12:13], v[12:13], v[24:25]
	;; [unrolled: 1-line block ×3, first 2 shown]
	v_mov_b32_e32 v6, v32
	ds_write2_b64 v21, v[14:15], v[12:13] offset0:6 offset1:7
	v_pk_fma_f32 v[12:13], v[4:5], s[14:15], v[130:131] neg_lo:[0,0,1] neg_hi:[0,0,1]
	v_pk_fma_f32 v[14:15], v[4:5], s[10:11], v[104:105] neg_lo:[0,0,1] neg_hi:[0,0,1]
	v_pk_add_f32 v[0:1], v[6:7], v[0:1]
	v_mov_b32_e32 v8, v44
	v_mov_b32_e32 v13, v133
	;; [unrolled: 1-line block ×3, first 2 shown]
	v_pk_add_f32 v[8:9], v[8:9], v[0:1]
	v_pk_fma_f32 v[0:1], v[4:5], s[6:7], v[74:75] neg_lo:[0,0,1] neg_hi:[0,0,1]
	v_pk_fma_f32 v[4:5], v[4:5], s[2:3], v[50:51] neg_lo:[0,0,1] neg_hi:[0,0,1]
	v_mov_b32_e32 v137, v139
	v_pk_add_f32 v[12:13], v[12:13], v[2:3]
	v_mov_b32_e32 v111, v113
	v_pk_add_f32 v[14:15], v[14:15], v[2:3]
	v_mov_b32_e32 v1, v73
	v_mov_b32_e32 v5, v49
	;; [unrolled: 1-line block ×3, first 2 shown]
	v_pk_add_f32 v[12:13], v[136:137], v[12:13]
	v_mov_b32_e32 v115, v117
	v_pk_add_f32 v[14:15], v[110:111], v[14:15]
	v_mov_b32_e32 v71, v77
	;; [unrolled: 2-line block ×11, first 2 shown]
	v_pk_add_f32 v[2:3], v[54:55], v[2:3]
	v_pk_add_f32 v[12:13], v[148:149], v[12:13]
	v_mov_b32_e32 v153, v155
	v_pk_add_f32 v[14:15], v[122:123], v[14:15]
	v_mov_b32_e32 v127, v129
	v_mov_b32_e32 v87, v93
	v_pk_add_f32 v[0:1], v[80:81], v[0:1]
	v_mov_b32_e32 v63, v65
	v_pk_add_f32 v[2:3], v[58:59], v[2:3]
	s_movk_i32 s0, 0xffa0
	v_pk_add_f32 v[12:13], v[152:153], v[12:13]
	v_pk_add_f32 v[14:15], v[126:127], v[14:15]
	;; [unrolled: 1-line block ×3, first 2 shown]
	v_mov_b32_e32 v91, v89
	v_pk_add_f32 v[2:3], v[62:63], v[2:3]
	v_mov_b32_e32 v69, v67
	v_mad_i32_i24 v41, v96, s0, v21
	ds_write2_b64 v21, v[12:13], v[14:15] offset0:8 offset1:9
	v_pk_add_f32 v[0:1], v[90:91], v[0:1]
	v_pk_add_f32 v[2:3], v[68:69], v[2:3]
	v_lshl_add_u32 v10, v97, 3, v17
	v_lshl_add_u32 v11, v98, 3, v17
	v_add_u32_e32 v12, 0x800, v41
	v_lshl_add_u32 v13, v99, 3, v17
	v_lshl_add_u32 v14, v101, 3, v17
	ds_write2_b64 v21, v[0:1], v[2:3] offset0:10 offset1:11
	ds_write_b64 v21, v[8:9] offset:96
	s_waitcnt lgkmcnt(0)
	; wave barrier
	s_waitcnt lgkmcnt(0)
	ds_read2_b64 v[0:3], v41 offset0:208 offset1:240
	ds_read2_b64 v[4:7], v12 offset0:16 offset1:48
	ds_read_b64 v[20:21], v10
	ds_read_b64 v[22:23], v11
	;; [unrolled: 1-line block ×4, first 2 shown]
	ds_read2_b64 v[12:15], v12 offset0:80 offset1:112
	v_lshl_add_u32 v40, v96, 3, v17
	v_lshl_add_u32 v18, v100, 3, v17
	ds_read_b64 v[16:17], v40
	ds_read_b64 v[26:27], v18
	v_cmp_gt_u32_e64 s[0:1], 16, v96
	v_lshlrev_b32_e32 v38, 3, v33
                                        ; implicit-def: $vgpr19
	s_and_saveexec_b64 s[2:3], s[0:1]
	s_cbranch_execz .LBB0_15
; %bb.14:
	v_lshlrev_b32_e32 v8, 3, v102
	v_add3_u32 v8, 0, v8, v38
	ds_read_b64 v[8:9], v8
	ds_read_b64 v[18:19], v41 offset:3200
.LBB0_15:
	s_or_b64 exec, exec, s[2:3]
	v_mul_lo_u16_e32 v30, 20, v96
	v_lshrrev_b16_e32 v43, 8, v30
	v_mul_lo_u16_e32 v30, 13, v43
	v_sub_u16_e32 v30, v96, v30
	v_mov_b32_e32 v48, 3
	s_movk_i32 s2, 0x4f
	v_lshlrev_b32_sdwa v57, v48, v30 dst_sel:DWORD dst_unused:UNUSED_PAD src0_sel:DWORD src1_sel:BYTE_0
	v_mul_lo_u16_sdwa v30, v101, s2 dst_sel:DWORD dst_unused:UNUSED_PAD src0_sel:BYTE_0 src1_sel:DWORD
	v_lshrrev_b16_e32 v62, 10, v30
	v_mul_lo_u16_e32 v30, 13, v62
	v_sub_u16_e32 v30, v101, v30
	v_lshlrev_b32_sdwa v63, v48, v30 dst_sel:DWORD dst_unused:UNUSED_PAD src0_sel:DWORD src1_sel:BYTE_0
	v_mul_lo_u16_sdwa v30, v102, s2 dst_sel:DWORD dst_unused:UNUSED_PAD src0_sel:BYTE_0 src1_sel:DWORD
	v_lshrrev_b16_e32 v39, 10, v30
	v_mul_lo_u16_e32 v30, 13, v39
	v_sub_u16_e32 v34, v102, v30
	global_load_dwordx2 v[30:31], v57, s[4:5]
	global_load_dwordx2 v[32:33], v63, s[4:5]
	v_lshlrev_b32_sdwa v42, v48, v34 dst_sel:DWORD dst_unused:UNUSED_PAD src0_sel:DWORD src1_sel:BYTE_0
	v_mul_lo_u16_sdwa v36, v100, s2 dst_sel:DWORD dst_unused:UNUSED_PAD src0_sel:BYTE_0 src1_sel:DWORD
	global_load_dwordx2 v[34:35], v42, s[4:5]
	v_lshrrev_b16_e32 v64, 10, v36
	v_mul_lo_u16_e32 v36, 13, v64
	v_mul_lo_u16_sdwa v44, v99, s2 dst_sel:DWORD dst_unused:UNUSED_PAD src0_sel:BYTE_0 src1_sel:DWORD
	v_sub_u16_e32 v36, v100, v36
	v_lshrrev_b16_e32 v66, 10, v44
	v_mul_lo_u16_sdwa v46, v98, s2 dst_sel:DWORD dst_unused:UNUSED_PAD src0_sel:BYTE_0 src1_sel:DWORD
	v_lshlrev_b32_sdwa v65, v48, v36 dst_sel:DWORD dst_unused:UNUSED_PAD src0_sel:DWORD src1_sel:BYTE_0
	global_load_dwordx2 v[36:37], v65, s[4:5]
	v_mul_lo_u16_e32 v44, 13, v66
	v_sub_u16_e32 v44, v99, v44
	v_lshrrev_b16_e32 v68, 10, v46
	v_lshlrev_b32_sdwa v67, v48, v44 dst_sel:DWORD dst_unused:UNUSED_PAD src0_sel:DWORD src1_sel:BYTE_0
	global_load_dwordx2 v[44:45], v67, s[4:5]
	v_mul_lo_u16_e32 v46, 13, v68
	v_mul_lo_u16_sdwa v49, v97, s2 dst_sel:DWORD dst_unused:UNUSED_PAD src0_sel:BYTE_0 src1_sel:DWORD
	v_sub_u16_e32 v46, v98, v46
	v_lshrrev_b16_e32 v70, 10, v49
	v_lshlrev_b32_sdwa v69, v48, v46 dst_sel:DWORD dst_unused:UNUSED_PAD src0_sel:DWORD src1_sel:BYTE_0
	global_load_dwordx2 v[46:47], v69, s[4:5]
	v_mul_lo_u16_e32 v49, 13, v70
	v_sub_u16_e32 v49, v97, v49
	v_lshlrev_b32_sdwa v71, v48, v49 dst_sel:DWORD dst_unused:UNUSED_PAD src0_sel:DWORD src1_sel:BYTE_0
	global_load_dwordx2 v[48:49], v71, s[4:5]
	s_movk_i32 s6, 0xd0
	s_waitcnt lgkmcnt(2)
	v_mov_b32_e32 v50, v13
	v_mov_b32_e32 v51, v12
	v_mad_u32_u24 v66, v66, s6, 0
	v_mad_u32_u24 v62, v62, s6, 0
	;; [unrolled: 1-line block ×3, first 2 shown]
	v_mov_b32_e32 v56, v1
	v_mad_u32_u24 v13, v43, s6, 0
	v_add3_u32 v72, v66, v67, v38
	v_add3_u32 v73, v62, v63, v38
	;; [unrolled: 1-line block ×3, first 2 shown]
	v_mad_u32_u24 v43, v70, s6, 0
	v_mad_u32_u24 v68, v68, s6, 0
	v_add3_u32 v70, v13, v57, v38
	v_add3_u32 v43, v43, v71, v38
	v_add3_u32 v71, v68, v69, v38
	s_waitcnt lgkmcnt(1)
	v_mov_b32_e32 v58, v8
	v_mov_b32_e32 v59, v10
	;; [unrolled: 1-line block ×8, first 2 shown]
	s_waitcnt lgkmcnt(0)
	; wave barrier
	s_waitcnt vmcnt(6) lgkmcnt(0)
	v_pk_mul_f32 v[62:63], v[30:31], v[0:1] op_sel_hi:[1,0]
	s_waitcnt vmcnt(5)
	v_mov_b32_e32 v64, v33
	v_pk_mul_f32 v[66:67], v[32:33], v[50:51]
	v_pk_fma_f32 v[56:57], v[30:31], v[56:57], v[62:63] op_sel:[1,0,0] op_sel_hi:[0,1,1]
	v_pk_fma_f32 v[0:1], v[30:31], v[0:1], v[62:63] op_sel:[1,1,0] op_sel_hi:[0,1,1] neg_lo:[0,0,1] neg_hi:[0,0,1]
	v_pk_mul_f32 v[30:31], v[64:65], v[50:51]
	v_mov_b32_e32 v13, v66
	s_waitcnt vmcnt(4)
	v_mul_f32_e32 v68, v19, v35
	v_mul_f32_e32 v35, v18, v35
	v_mov_b32_e32 v57, v1
	v_pk_fma_f32 v[0:1], v[32:33], v[12:13], v[30:31] op_sel_hi:[1,0,1]
	v_pk_fma_f32 v[32:33], v[32:33], v[50:51], v[12:13] neg_lo:[1,0,0] neg_hi:[1,0,0]
	v_fmac_f32_e32 v68, v18, v34
	v_fma_f32 v32, v19, v34, -v35
	v_mov_b32_e32 v69, v0
	v_pk_add_f32 v[0:1], v[58:59], v[68:69] neg_lo:[0,1] neg_hi:[0,1]
	v_pk_add_f32 v[32:33], v[60:61], v[32:33] neg_lo:[0,1] neg_hi:[0,1]
	v_mov_b32_e32 v34, v0
	v_mov_b32_e32 v35, v32
	v_pk_add_f32 v[12:13], v[16:17], v[56:57] neg_lo:[0,1] neg_hi:[0,1]
	v_pk_fma_f32 v[18:19], v[8:9], 2.0, v[34:35] op_sel_hi:[1,0,1] neg_lo:[0,0,1] neg_hi:[0,0,1]
	s_waitcnt vmcnt(3)
	v_pk_mul_f32 v[8:9], v[36:37], v[14:15] op_sel:[0,1]
	v_pk_fma_f32 v[30:31], v[16:17], 2.0, v[12:13] op_sel_hi:[1,0,1] neg_lo:[0,0,1] neg_hi:[0,0,1]
	v_pk_fma_f32 v[16:17], v[36:37], v[14:15], v[8:9] op_sel:[0,0,1] op_sel_hi:[1,1,0]
	v_pk_fma_f32 v[8:9], v[36:37], v[14:15], v[8:9] op_sel:[0,0,1] op_sel_hi:[1,0,0] neg_lo:[1,0,0] neg_hi:[1,0,0]
	v_mov_b32_e32 v50, v1
	v_mov_b32_e32 v17, v9
	s_waitcnt vmcnt(2)
	v_pk_mul_f32 v[8:9], v[44:45], v[6:7] op_sel:[0,1]
	v_mov_b32_e32 v51, v33
	v_pk_fma_f32 v[14:15], v[44:45], v[6:7], v[8:9] op_sel:[0,0,1] op_sel_hi:[1,1,0]
	v_pk_fma_f32 v[6:7], v[44:45], v[6:7], v[8:9] op_sel:[0,0,1] op_sel_hi:[1,0,0] neg_lo:[1,0,0] neg_hi:[1,0,0]
	v_pk_add_f32 v[16:17], v[26:27], v[16:17] neg_lo:[0,1] neg_hi:[0,1]
	v_mov_b32_e32 v15, v7
	s_waitcnt vmcnt(1)
	v_pk_mul_f32 v[6:7], v[46:47], v[4:5] op_sel:[0,1]
	v_pk_add_f32 v[24:25], v[24:25], v[14:15] neg_lo:[0,1] neg_hi:[0,1]
	v_pk_fma_f32 v[8:9], v[46:47], v[4:5], v[6:7] op_sel:[0,0,1] op_sel_hi:[1,1,0]
	v_pk_fma_f32 v[4:5], v[46:47], v[4:5], v[6:7] op_sel:[0,0,1] op_sel_hi:[1,0,0] neg_lo:[1,0,0] neg_hi:[1,0,0]
	s_waitcnt vmcnt(0)
	v_pk_mul_f32 v[6:7], v[48:49], v[2:3] op_sel:[0,1]
	v_mov_b32_e32 v9, v5
	v_pk_add_f32 v[4:5], v[22:23], v[8:9] neg_lo:[0,1] neg_hi:[0,1]
	v_pk_fma_f32 v[8:9], v[48:49], v[2:3], v[6:7] op_sel:[0,0,1] op_sel_hi:[1,1,0]
	v_pk_fma_f32 v[2:3], v[48:49], v[2:3], v[6:7] op_sel:[0,0,1] op_sel_hi:[1,0,0] neg_lo:[1,0,0] neg_hi:[1,0,0]
	v_mov_b32_e32 v6, v25
	v_mov_b32_e32 v9, v3
	v_pk_add_f32 v[2:3], v[20:21], v[8:9] neg_lo:[0,1] neg_hi:[0,1]
	v_mov_b32_e32 v8, v24
	v_mov_b32_e32 v9, v2
	;; [unrolled: 1-line block ×3, first 2 shown]
	v_pk_fma_f32 v[36:37], v[52:53], 2.0, v[8:9] op_sel_hi:[1,0,1] neg_lo:[0,0,1] neg_hi:[0,0,1]
	v_pk_fma_f32 v[14:15], v[54:55], 2.0, v[6:7] op_sel_hi:[1,0,1] neg_lo:[0,0,1] neg_hi:[0,0,1]
	v_mov_b32_e32 v20, v37
	v_mov_b32_e32 v21, v15
	v_pk_fma_f32 v[10:11], v[10:11], 2.0, v[50:51] op_sel_hi:[1,0,1] neg_lo:[0,0,1] neg_hi:[0,0,1]
	v_pk_fma_f32 v[26:27], v[26:27], 2.0, v[16:17] op_sel_hi:[1,0,1] neg_lo:[0,0,1] neg_hi:[0,0,1]
	;; [unrolled: 1-line block ×3, first 2 shown]
	ds_write2_b64 v70, v[30:31], v[12:13] offset1:13
	ds_write2_b64 v43, v[20:21], v[2:3] offset1:13
	ds_write2_b64 v71, v[22:23], v[4:5] offset1:13
	v_mov_b32_e32 v2, v36
	v_mov_b32_e32 v3, v14
	ds_write2_b64 v72, v[2:3], v[24:25] offset1:13
	ds_write2_b64 v73, v[10:11], v[50:51] offset1:13
	;; [unrolled: 1-line block ×3, first 2 shown]
	s_and_saveexec_b64 s[2:3], s[0:1]
	s_cbranch_execz .LBB0_17
; %bb.16:
	v_mad_u32_u24 v2, v39, s6, 0
	v_add3_u32 v2, v2, v42, v38
	ds_write2_b64 v2, v[18:19], v[34:35] offset1:13
.LBB0_17:
	s_or_b64 exec, exec, s[2:3]
	v_cmp_gt_u32_e64 s[0:1], 26, v96
	v_cmp_lt_u32_e64 s[2:3], 25, v96
	s_waitcnt lgkmcnt(0)
	; wave barrier
	s_waitcnt lgkmcnt(0)
                                        ; implicit-def: $vgpr34_vgpr35
                                        ; implicit-def: $vgpr38_vgpr39
                                        ; implicit-def: $vgpr58_vgpr59
	s_and_saveexec_b64 s[6:7], s[2:3]
	s_xor_b64 s[2:3], exec, s[6:7]
	s_cbranch_execnz .LBB0_21
; %bb.18:
	s_or_saveexec_b64 s[2:3], s[2:3]
                                        ; implicit-def: $vgpr50
	s_xor_b64 exec, exec, s[2:3]
	s_cbranch_execnz .LBB0_22
.LBB0_19:
	s_or_b64 exec, exec, s[2:3]
	s_and_b64 s[0:1], vcc, s[0:1]
	s_and_saveexec_b64 s[2:3], s[0:1]
	s_cbranch_execnz .LBB0_23
.LBB0_20:
	s_endpgm
.LBB0_21:
	v_mov_b32_e32 v34, v5
	v_mov_b32_e32 v35, v13
	v_mov_b64_e32 v[38:39], v[16:17]
	v_mov_b64_e32 v[58:59], v[26:27]
                                        ; implicit-def: $vgpr40
                                        ; implicit-def: $vgpr41
	s_or_saveexec_b64 s[2:3], s[2:3]
                                        ; implicit-def: $vgpr50
	s_xor_b64 exec, exec, s[2:3]
	s_cbranch_execz .LBB0_19
.LBB0_22:
	v_add_u32_e32 v0, 0x400, v41
	ds_read2_b64 v[12:15], v41 offset0:26 offset1:52
	ds_read2_b64 v[20:23], v41 offset0:78 offset1:104
	;; [unrolled: 1-line block ×5, first 2 shown]
	v_add_u32_e32 v0, 0x800, v41
	ds_read2_b64 v[16:19], v0 offset0:30 offset1:56
	ds_read2_b64 v[0:3], v0 offset0:82 offset1:108
	ds_read_b64 v[30:31], v40
	ds_read_b64 v[50:51], v41 offset:3120
	s_waitcnt lgkmcnt(6)
	v_mov_b32_e32 v34, v5
	v_mov_b32_e32 v35, v13
	;; [unrolled: 1-line block ×5, first 2 shown]
	s_waitcnt lgkmcnt(2)
	v_mov_b32_e32 v58, v3
	v_mov_b32_e32 v59, v27
	s_waitcnt lgkmcnt(0)
	v_mov_b32_e32 v38, v51
	v_mov_b32_e32 v39, v17
	;; [unrolled: 1-line block ×8, first 2 shown]
	s_or_b64 exec, exec, s[2:3]
	s_and_b64 s[0:1], vcc, s[0:1]
	s_and_saveexec_b64 s[2:3], s[0:1]
	s_cbranch_execz .LBB0_20
.LBB0_23:
	v_mov_b32_e32 v5, v12
	v_mul_u32_u24_e32 v12, 15, v96
	v_lshlrev_b32_e32 v12, 3, v12
	global_load_dwordx4 v[64:67], v12, s[4:5] offset:104
	global_load_dwordx4 v[68:71], v12, s[4:5] offset:120
	;; [unrolled: 1-line block ×7, first 2 shown]
	global_load_dwordx2 v[92:93], v12, s[4:5] offset:216
	v_mad_u64_u32 v[12:13], s[0:1], s8, v96, 0
	v_mov_b32_e32 v51, v16
	v_mov_b32_e32 v16, v13
	v_mad_u64_u32 v[16:17], s[0:1], s9, v96, v[16:17]
	v_add_u32_e32 v21, 26, v96
	v_mov_b32_e32 v13, v16
	v_mad_u64_u32 v[16:17], s[0:1], s8, v21, 0
	v_mov_b32_e32 v20, v17
	v_mad_u64_u32 v[20:21], s[0:1], s9, v21, v[20:21]
	v_add_u32_e32 v25, 52, v96
	v_mov_b32_e32 v17, v20
	v_mad_u64_u32 v[20:21], s[0:1], s8, v25, 0
	;; [unrolled: 5-line block ×3, first 2 shown]
	v_mov_b32_e32 v3, v26
	v_mov_b32_e32 v26, v25
	v_mad_u64_u32 v[26:27], s[0:1], s9, v27, v[26:27]
	v_add_u32_e32 v41, 0x68, v96
	v_mov_b32_e32 v25, v26
	v_mad_u64_u32 v[26:27], s[0:1], s8, v41, 0
	v_mov_b32_e32 v40, v27
	v_mad_u64_u32 v[40:41], s[0:1], s9, v41, v[40:41]
	v_add_u32_e32 v43, 0x82, v96
	v_mov_b32_e32 v27, v40
	v_mad_u64_u32 v[40:41], s[0:1], s8, v43, 0
	v_mov_b32_e32 v42, v41
	v_mad_u64_u32 v[42:43], s[0:1], s9, v43, v[42:43]
	v_add_u32_e32 v45, 0x9c, v96
	v_mov_b32_e32 v41, v42
	v_mad_u64_u32 v[42:43], s[0:1], s8, v45, 0
	v_mov_b32_e32 v44, v43
	v_mad_u64_u32 v[44:45], s[0:1], s9, v45, v[44:45]
	v_add_u32_e32 v47, 0xb6, v96
	v_mov_b32_e32 v43, v44
	v_mad_u64_u32 v[44:45], s[0:1], s8, v47, 0
	v_mov_b32_e32 v46, v45
	v_mad_u64_u32 v[46:47], s[0:1], s9, v47, v[46:47]
	v_add_u32_e32 v49, 0xd0, v96
	v_mov_b32_e32 v45, v46
	v_mad_u64_u32 v[46:47], s[0:1], s8, v49, 0
	v_mov_b32_e32 v48, v47
	v_mad_u64_u32 v[48:49], s[0:1], s9, v49, v[48:49]
	v_add_u32_e32 v53, 0xea, v96
	v_mov_b32_e32 v47, v48
	v_mad_u64_u32 v[48:49], s[0:1], s8, v53, 0
	v_mov_b32_e32 v52, v49
	v_mad_u64_u32 v[52:53], s[0:1], s9, v53, v[52:53]
	v_add_u32_e32 v55, 0x104, v96
	v_mov_b32_e32 v49, v52
	v_mad_u64_u32 v[52:53], s[0:1], s8, v55, 0
	v_mov_b32_e32 v54, v53
	v_mad_u64_u32 v[54:55], s[0:1], s9, v55, v[54:55]
	v_add_u32_e32 v57, 0x11e, v96
	v_mov_b32_e32 v53, v54
	v_mad_u64_u32 v[54:55], s[0:1], s8, v57, 0
	v_mov_b32_e32 v56, v55
	v_mad_u64_u32 v[56:57], s[0:1], s9, v57, v[56:57]
	v_add_u32_e32 v61, 0x138, v96
	v_mov_b32_e32 v55, v56
	v_mad_u64_u32 v[56:57], s[0:1], s8, v61, 0
	v_mov_b32_e32 v60, v57
	v_mad_u64_u32 v[60:61], s[0:1], s9, v61, v[60:61]
	v_add_u32_e32 v63, 0x152, v96
	v_mov_b32_e32 v57, v60
	v_mad_u64_u32 v[60:61], s[0:1], s8, v63, 0
	v_mov_b32_e32 v62, v61
	v_mad_u64_u32 v[62:63], s[0:1], s9, v63, v[62:63]
	v_add_u32_e32 v95, 0x16c, v96
	v_mov_b32_e32 v61, v62
	v_mad_u64_u32 v[62:63], s[0:1], s8, v95, 0
	v_mov_b32_e32 v94, v63
	v_mad_u64_u32 v[94:95], s[0:1], s9, v95, v[94:95]
	v_add_u32_e32 v97, 0x186, v96
	v_mov_b32_e32 v63, v94
	v_mad_u64_u32 v[94:95], s[0:1], s8, v97, 0
	v_mov_b32_e32 v96, v95
	v_mad_u64_u32 v[96:97], s[0:1], s9, v97, v[96:97]
	v_mov_b32_e32 v95, v96
	v_lshl_add_u64 v[12:13], v[12:13], 3, v[28:29]
	v_lshl_add_u64 v[16:17], v[16:17], 3, v[28:29]
	;; [unrolled: 1-line block ×16, first 2 shown]
	s_waitcnt vmcnt(7)
	v_mov_b32_e32 v95, v66
	s_waitcnt vmcnt(5)
	v_mov_b32_e32 v66, v75
	v_mov_b32_e32 v94, v74
	v_pk_mul_f32 v[74:75], v[36:37], v[66:67]
	s_waitcnt vmcnt(3)
	v_mov_b32_e32 v97, v82
	v_pk_fma_f32 v[74:75], v[14:15], v[94:95], v[74:75] neg_lo:[0,0,1] neg_hi:[0,0,1]
	v_pk_mul_f32 v[14:15], v[14:15], v[66:67]
	s_waitcnt vmcnt(1)
	v_mov_b32_e32 v82, v91
	v_pk_fma_f32 v[14:15], v[36:37], v[94:95], v[14:15]
	v_mov_b32_e32 v94, v71
	v_mov_b32_e32 v95, v70
	;; [unrolled: 1-line block ×3, first 2 shown]
	v_pk_mul_f32 v[90:91], v[2:3], v[82:83]
	v_pk_mul_f32 v[36:37], v[58:59], v[82:83]
	v_mov_b32_e32 v66, v23
	v_mov_b32_e32 v82, v23
	v_pk_mul_f32 v[22:23], v[22:23], v[94:95] op_sel_hi:[0,1]
	v_pk_fma_f32 v[66:67], v[66:67], v[70:71], v[22:23] neg_lo:[0,0,1] neg_hi:[0,0,1]
	v_pk_fma_f32 v[22:23], v[82:83], v[70:71], v[22:23] op_sel_hi:[0,1,1]
	v_mov_b32_e32 v70, v87
	v_mov_b32_e32 v71, v86
	v_pk_mul_f32 v[70:71], v[18:19], v[70:71] op_sel_hi:[0,1]
	v_pk_fma_f32 v[82:83], v[18:19], v[86:87], v[70:71] op_sel:[1,0,0] neg_lo:[0,0,1] neg_hi:[0,0,1]
	v_pk_fma_f32 v[18:19], v[18:19], v[86:87], v[70:71] op_sel:[1,0,0]
	v_mov_b32_e32 v67, v23
	v_mov_b32_e32 v83, v19
	v_pk_mul_f32 v[70:71], v[10:11], v[78:79] op_sel:[1,0]
	v_pk_add_f32 v[18:19], v[66:67], v[82:83] neg_lo:[0,1] neg_hi:[0,1]
	v_pk_fma_f32 v[82:83], v[10:11], v[78:79], v[70:71] op_sel:[0,0,1] op_sel_hi:[1,1,0]
	v_pk_fma_f32 v[10:11], v[10:11], v[78:79], v[70:71] op_sel:[0,0,1] op_sel_hi:[0,1,0] neg_lo:[1,0,0] neg_hi:[1,0,0]
	v_pk_fma_f32 v[90:91], v[58:59], v[96:97], v[90:91] neg_lo:[0,0,1] neg_hi:[0,0,1]
	v_pk_fma_f32 v[2:3], v[2:3], v[96:97], v[36:37]
	v_mov_b32_e32 v83, v11
	v_pk_add_f32 v[90:91], v[74:75], v[90:91] neg_lo:[0,1] neg_hi:[0,1]
	v_pk_add_f32 v[2:3], v[14:15], v[2:3] neg_lo:[0,1] neg_hi:[0,1]
	;; [unrolled: 1-line block ×3, first 2 shown]
	v_pk_add_f32 v[36:37], v[90:91], v[2:3] op_sel:[0,1] op_sel_hi:[1,0]
	v_pk_add_f32 v[58:59], v[90:91], v[2:3] op_sel:[0,1] op_sel_hi:[1,0] neg_lo:[0,1] neg_hi:[0,1]
	v_pk_add_f32 v[70:71], v[10:11], v[18:19]
	v_pk_add_f32 v[78:79], v[10:11], v[18:19] neg_lo:[0,1] neg_hi:[0,1]
	v_mov_b32_e32 v37, v59
	s_mov_b32 s0, 0x3f3504f3
	v_mov_b32_e32 v71, v79
	v_pk_mul_f32 v[58:59], v[36:37], s[0:1] op_sel_hi:[1,0]
	v_pk_fma_f32 v[82:83], v[36:37], s[0:1], v[70:71] op_sel_hi:[1,0,1]
	v_mov_b32_e32 v95, v84
	v_pk_add_f32 v[86:87], v[82:83], v[58:59] op_sel:[0,1] op_sel_hi:[1,0]
	v_pk_add_f32 v[58:59], v[82:83], v[58:59] op_sel:[0,1] op_sel_hi:[1,0] neg_lo:[0,1] neg_hi:[0,1]
	v_mov_b32_e32 v83, v68
	v_mov_b32_e32 v68, v77
	;; [unrolled: 1-line block ×3, first 2 shown]
	v_pk_mul_f32 v[76:77], v[8:9], v[68:69]
	s_waitcnt vmcnt(0)
	v_mov_b32_e32 v84, v93
	v_pk_fma_f32 v[76:77], v[6:7], v[82:83], v[76:77] neg_lo:[0,0,1] neg_hi:[0,0,1]
	v_pk_mul_f32 v[6:7], v[6:7], v[68:69]
	v_mov_b32_e32 v69, v64
	v_pk_fma_f32 v[6:7], v[8:9], v[82:83], v[6:7]
	v_mov_b32_e32 v64, v73
	v_mov_b32_e32 v83, v80
	v_mov_b32_e32 v80, v89
	v_mov_b32_e32 v94, v92
	v_pk_mul_f32 v[92:93], v[50:51], v[84:85]
	v_pk_mul_f32 v[8:9], v[38:39], v[84:85]
	v_mov_b32_e32 v68, v72
	v_pk_mul_f32 v[72:73], v[4:5], v[64:65]
	v_mov_b32_e32 v82, v88
	v_pk_mul_f32 v[84:85], v[0:1], v[80:81]
	v_pk_fma_f32 v[72:73], v[34:35], v[68:69], v[72:73] neg_lo:[0,0,1] neg_hi:[0,0,1]
	v_pk_fma_f32 v[84:85], v[32:33], v[82:83], v[84:85] neg_lo:[0,0,1] neg_hi:[0,0,1]
	v_pk_mul_f32 v[34:35], v[34:35], v[64:65]
	v_pk_mul_f32 v[32:33], v[32:33], v[80:81]
	v_pk_fma_f32 v[92:93], v[38:39], v[94:95], v[92:93] neg_lo:[0,0,1] neg_hi:[0,0,1]
	v_pk_fma_f32 v[8:9], v[50:51], v[94:95], v[8:9]
	v_pk_fma_f32 v[4:5], v[4:5], v[68:69], v[34:35]
	;; [unrolled: 1-line block ×3, first 2 shown]
	v_pk_add_f32 v[92:93], v[76:77], v[92:93] neg_lo:[0,1] neg_hi:[0,1]
	v_pk_add_f32 v[8:9], v[6:7], v[8:9] neg_lo:[0,1] neg_hi:[0,1]
	;; [unrolled: 1-line block ×4, first 2 shown]
	v_pk_add_f32 v[38:39], v[92:93], v[8:9] op_sel:[0,1] op_sel_hi:[1,0]
	v_pk_add_f32 v[50:51], v[92:93], v[8:9] op_sel:[0,1] op_sel_hi:[1,0] neg_lo:[0,1] neg_hi:[0,1]
	v_pk_add_f32 v[32:33], v[84:85], v[0:1] op_sel:[0,1] op_sel_hi:[1,0]
	v_pk_add_f32 v[34:35], v[84:85], v[0:1] op_sel:[0,1] op_sel_hi:[1,0] neg_lo:[0,1] neg_hi:[0,1]
	v_mov_b32_e32 v39, v51
	v_mov_b32_e32 v33, v35
	v_pk_mul_f32 v[50:51], v[38:39], s[0:1] op_sel_hi:[1,0]
	v_pk_fma_f32 v[64:65], v[38:39], s[0:1], v[32:33] op_sel_hi:[1,0,1]
	v_fma_f32 v22, v79, 2.0, -v59
	v_pk_add_f32 v[68:69], v[64:65], v[50:51] op_sel:[0,1] op_sel_hi:[1,0]
	v_pk_add_f32 v[50:51], v[64:65], v[50:51] op_sel:[0,1] op_sel_hi:[1,0] neg_lo:[0,1] neg_hi:[0,1]
	v_fma_f32 v34, v32, 2.0, -v68
	v_fma_f32 v50, v35, 2.0, -v51
	v_fmamk_f32 v35, v50, 0xbec3ef15, v22
	v_mov_b32_e32 v87, v59
	v_mov_b32_e32 v69, v51
	s_mov_b32 s2, 0x3ec3ef15
	s_mov_b32 s4, 0x3f6c835e
	v_fmac_f32_e32 v35, 0xbf6c835e, v34
	v_pk_mul_f32 v[64:65], v[68:69], s[2:3] op_sel_hi:[1,0]
	v_pk_fma_f32 v[80:81], v[68:69], s[4:5], v[86:87] op_sel_hi:[1,0,1]
	v_fma_f32 v51, v22, 2.0, -v35
	v_fma_f32 v22, v70, 2.0, -v86
	v_pk_add_f32 v[82:83], v[80:81], v[64:65] op_sel:[0,1] op_sel_hi:[1,0]
	v_pk_add_f32 v[64:65], v[80:81], v[64:65] op_sel:[0,1] op_sel_hi:[1,0] neg_lo:[0,1] neg_hi:[0,1]
	v_fmamk_f32 v34, v34, 0xbec3ef15, v22
	v_mov_b32_e32 v83, v65
	v_fmac_f32_e32 v34, 0x3f6c835e, v50
	v_mov_b32_e32 v58, v30
	v_mov_b32_e32 v30, v75
	;; [unrolled: 1-line block ×4, first 2 shown]
	v_fma_f32 v50, v22, 2.0, -v34
	v_mov_b32_e32 v59, v15
	v_pk_fma_f32 v[30:31], v[30:31], 2.0, v[64:65] op_sel_hi:[1,0,1] neg_lo:[0,0,1] neg_hi:[0,0,1]
	v_mov_b32_e32 v75, v66
	v_mov_b32_e32 v64, v90
	;; [unrolled: 1-line block ×9, first 2 shown]
	v_pk_fma_f32 v[64:65], v[74:75], 2.0, v[64:65] op_sel_hi:[1,0,1] neg_lo:[0,0,1] neg_hi:[0,0,1]
	v_pk_fma_f32 v[58:59], v[58:59], 2.0, v[66:67] op_sel_hi:[1,0,1] neg_lo:[0,0,1] neg_hi:[0,0,1]
	;; [unrolled: 1-line block ×3, first 2 shown]
	v_pk_add_f32 v[64:65], v[30:31], v[64:65] neg_lo:[0,1] neg_hi:[0,1]
	v_pk_add_f32 v[14:15], v[58:59], v[14:15] neg_lo:[0,1] neg_hi:[0,1]
	v_mov_b32_e32 v66, v93
	v_pk_add_f32 v[18:19], v[64:65], v[14:15]
	v_pk_add_f32 v[22:23], v[64:65], v[14:15] neg_lo:[0,1] neg_hi:[0,1]
	v_mov_b32_e32 v67, v85
	v_mov_b32_e32 v19, v23
	;; [unrolled: 1-line block ×5, first 2 shown]
	v_pk_fma_f32 v[22:23], v[22:23], 2.0, v[66:67] op_sel_hi:[1,0,1] neg_lo:[0,0,1] neg_hi:[0,0,1]
	v_mov_b32_e32 v66, v92
	v_mov_b32_e32 v67, v84
	v_pk_fma_f32 v[2:3], v[90:91], 2.0, v[36:37] op_sel_hi:[1,0,1] neg_lo:[0,0,1] neg_hi:[0,0,1]
	v_pk_fma_f32 v[10:11], v[10:11], 2.0, v[70:71] op_sel_hi:[1,0,1] neg_lo:[0,0,1] neg_hi:[0,0,1]
	v_mov_b32_e32 v92, v9
	v_mov_b32_e32 v84, v1
	;; [unrolled: 1-line block ×10, first 2 shown]
	v_pk_mul_f32 v[36:37], v[2:3], s[0:1] op_sel_hi:[1,0]
	v_pk_fma_f32 v[2:3], v[2:3], s[0:1], v[10:11] op_sel_hi:[1,0,1] neg_lo:[1,0,0] neg_hi:[1,0,0]
	v_pk_fma_f32 v[8:9], v[92:93], 2.0, v[38:39] op_sel_hi:[1,0,1] neg_lo:[0,0,1] neg_hi:[0,0,1]
	v_pk_fma_f32 v[0:1], v[84:85], 2.0, v[32:33] op_sel_hi:[1,0,1] neg_lo:[0,0,1] neg_hi:[0,0,1]
	v_pk_add_f32 v[70:71], v[2:3], v[36:37] op_sel:[0,1] op_sel_hi:[1,0]
	v_pk_add_f32 v[2:3], v[2:3], v[36:37] op_sel:[0,1] op_sel_hi:[1,0] neg_lo:[0,1] neg_hi:[0,1]
	v_pk_mul_f32 v[36:37], v[8:9], s[0:1] op_sel_hi:[1,0]
	v_pk_fma_f32 v[8:9], v[8:9], s[0:1], v[0:1] op_sel_hi:[1,0,1] neg_lo:[1,0,0] neg_hi:[1,0,0]
	v_fma_f32 v2, v11, 2.0, -v3
	v_pk_add_f32 v[32:33], v[8:9], v[36:37] op_sel:[0,1] op_sel_hi:[1,0]
	v_pk_add_f32 v[8:9], v[8:9], v[36:37] op_sel:[0,1] op_sel_hi:[1,0] neg_lo:[0,1] neg_hi:[0,1]
	v_pk_fma_f32 v[66:67], v[76:77], 2.0, v[66:67] op_sel_hi:[1,0,1] neg_lo:[0,0,1] neg_hi:[0,0,1]
	v_fma_f32 v8, v1, 2.0, -v9
	v_pk_fma_f32 v[68:69], v[68:69], 2.0, v[72:73] op_sel_hi:[1,0,1] neg_lo:[0,0,1] neg_hi:[0,0,1]
	v_pk_fma_f32 v[4:5], v[4:5], 2.0, v[6:7] op_sel_hi:[1,0,1] neg_lo:[0,0,1] neg_hi:[0,0,1]
	v_fmamk_f32 v1, v8, 0xbf6c835e, v2
	v_fma_f32 v0, v0, 2.0, -v32
	v_pk_add_f32 v[66:67], v[22:23], v[66:67] neg_lo:[0,1] neg_hi:[0,1]
	v_pk_add_f32 v[4:5], v[68:69], v[4:5] neg_lo:[0,1] neg_hi:[0,1]
	v_mov_b32_e32 v71, v3
	v_mov_b32_e32 v33, v9
	v_fmac_f32_e32 v1, 0xbec3ef15, v0
	v_pk_add_f32 v[6:7], v[66:67], v[4:5]
	v_pk_add_f32 v[72:73], v[66:67], v[4:5] neg_lo:[0,1] neg_hi:[0,1]
	v_pk_mul_f32 v[36:37], v[32:33], s[4:5] op_sel_hi:[1,0]
	v_pk_fma_f32 v[38:39], v[32:33], s[2:3], v[70:71] op_sel_hi:[1,0,1]
	v_fma_f32 v3, v2, 2.0, -v1
	v_fma_f32 v2, v10, 2.0, -v70
	v_mov_b32_e32 v10, v14
	v_mov_b32_e32 v32, v59
	;; [unrolled: 1-line block ×6, first 2 shown]
	v_fmamk_f32 v0, v0, 0xbf6c835e, v2
	v_mov_b32_e32 v9, v31
	v_pk_fma_f32 v[14:15], v[32:33], 2.0, v[14:15] op_sel_hi:[1,0,1] neg_lo:[0,0,1] neg_hi:[0,0,1]
	v_mov_b32_e32 v30, v23
	v_mov_b32_e32 v31, v68
	;; [unrolled: 1-line block ×4, first 2 shown]
	v_pk_mul_f32 v[72:73], v[6:7], s[0:1] op_sel_hi:[1,0]
	v_pk_fma_f32 v[74:75], v[6:7], s[0:1], v[18:19] op_sel_hi:[1,0,1]
	v_fmac_f32_e32 v0, 0x3ec3ef15, v8
	v_mov_b32_e32 v8, v58
	v_mov_b32_e32 v11, v65
	v_pk_fma_f32 v[30:31], v[30:31], 2.0, v[32:33] op_sel_hi:[1,0,1] neg_lo:[0,0,1] neg_hi:[0,0,1]
	v_mov_b32_e32 v23, v69
	v_mov_b32_e32 v32, v66
	;; [unrolled: 1-line block ×3, first 2 shown]
	v_pk_add_f32 v[76:77], v[74:75], v[72:73] op_sel:[0,1] op_sel_hi:[1,0]
	v_pk_add_f32 v[72:73], v[74:75], v[72:73] op_sel:[0,1] op_sel_hi:[1,0] neg_lo:[0,1] neg_hi:[0,1]
	v_pk_fma_f32 v[8:9], v[8:9], 2.0, v[10:11] op_sel_hi:[1,0,1] neg_lo:[0,0,1] neg_hi:[0,0,1]
	v_pk_fma_f32 v[22:23], v[22:23], 2.0, v[32:33] op_sel_hi:[1,0,1] neg_lo:[0,0,1] neg_hi:[0,0,1]
	v_mov_b32_e32 v5, v67
	v_mov_b32_e32 v77, v73
	v_pk_add_f32 v[72:73], v[38:39], v[36:37] op_sel:[0,1] op_sel_hi:[1,0]
	v_pk_add_f32 v[36:37], v[38:39], v[36:37] op_sel:[0,1] op_sel_hi:[1,0] neg_lo:[0,1] neg_hi:[0,1]
	v_pk_add_f32 v[14:15], v[8:9], v[14:15] neg_lo:[0,1] neg_hi:[0,1]
	v_pk_add_f32 v[22:23], v[30:31], v[22:23] neg_lo:[0,1] neg_hi:[0,1]
	v_pk_fma_f32 v[10:11], v[10:11], 2.0, v[18:19] op_sel_hi:[1,0,1] neg_lo:[0,0,1] neg_hi:[0,0,1]
	v_pk_fma_f32 v[4:5], v[4:5], 2.0, v[6:7] op_sel_hi:[1,0,1] neg_lo:[0,0,1] neg_hi:[0,0,1]
	v_mov_b32_e32 v73, v37
	v_pk_add_f32 v[32:33], v[14:15], v[22:23]
	v_pk_add_f32 v[36:37], v[14:15], v[22:23] neg_lo:[0,1] neg_hi:[0,1]
	v_pk_mul_f32 v[6:7], v[4:5], s[0:1] op_sel_hi:[1,0]
	v_pk_fma_f32 v[4:5], v[4:5], s[0:1], v[10:11] op_sel_hi:[1,0,1] neg_lo:[1,0,0] neg_hi:[1,0,0]
	v_mov_b32_e32 v33, v37
	v_pk_add_f32 v[36:37], v[4:5], v[6:7] op_sel:[0,1] op_sel_hi:[1,0]
	v_pk_add_f32 v[4:5], v[4:5], v[6:7] op_sel:[0,1] op_sel_hi:[1,0] neg_lo:[0,1] neg_hi:[0,1]
	v_pk_fma_f32 v[6:7], v[30:31], 2.0, v[22:23] op_sel_hi:[1,0,1] neg_lo:[0,0,1] neg_hi:[0,0,1]
	v_mov_b32_e32 v37, v5
	v_pk_fma_f32 v[4:5], v[8:9], 2.0, v[14:15] op_sel_hi:[1,0,1] neg_lo:[0,0,1] neg_hi:[0,0,1]
	v_fma_f32 v2, v2, 2.0, -v0
	v_pk_add_f32 v[6:7], v[4:5], v[6:7] op_sel:[0,1] op_sel_hi:[1,0] neg_lo:[0,1] neg_hi:[0,1]
	s_nop 0
	v_pk_fma_f32 v[4:5], v[4:5], 2.0, v[6:7] op_sel_hi:[1,0,1] neg_lo:[0,0,1] neg_hi:[0,0,1]
	global_store_dwordx2 v[12:13], v[4:5], off
	global_store_dwordx2 v[16:17], v[2:3], off
	v_pk_fma_f32 v[2:3], v[10:11], 2.0, v[36:37] op_sel_hi:[1,0,1] neg_lo:[0,0,1] neg_hi:[0,0,1]
	global_store_dwordx2 v[20:21], v[2:3], off
	global_store_dwordx2 v[24:25], v[50:51], off
	v_pk_fma_f32 v[2:3], v[14:15], 2.0, v[32:33] op_sel_hi:[1,0,1] neg_lo:[0,0,1] neg_hi:[0,0,1]
	global_store_dwordx2 v[26:27], v[2:3], off
	v_pk_fma_f32 v[2:3], v[70:71], 2.0, v[72:73] op_sel_hi:[1,0,1] neg_lo:[0,0,1] neg_hi:[0,0,1]
	;; [unrolled: 2-line block ×4, first 2 shown]
	global_store_dwordx2 v[44:45], v[2:3], off
	global_store_dwordx2 v[46:47], v[6:7], off
	;; [unrolled: 1-line block ×9, first 2 shown]
	s_endpgm
	.section	.rodata,"a",@progbits
	.p2align	6, 0x0
	.amdhsa_kernel fft_rtc_back_len416_factors_13_2_16_wgs_64_tpt_32_sp_ip_CI_sbrr_dirReg
		.amdhsa_group_segment_fixed_size 0
		.amdhsa_private_segment_fixed_size 0
		.amdhsa_kernarg_size 88
		.amdhsa_user_sgpr_count 2
		.amdhsa_user_sgpr_dispatch_ptr 0
		.amdhsa_user_sgpr_queue_ptr 0
		.amdhsa_user_sgpr_kernarg_segment_ptr 1
		.amdhsa_user_sgpr_dispatch_id 0
		.amdhsa_user_sgpr_kernarg_preload_length 0
		.amdhsa_user_sgpr_kernarg_preload_offset 0
		.amdhsa_user_sgpr_private_segment_size 0
		.amdhsa_uses_dynamic_stack 0
		.amdhsa_enable_private_segment 0
		.amdhsa_system_sgpr_workgroup_id_x 1
		.amdhsa_system_sgpr_workgroup_id_y 0
		.amdhsa_system_sgpr_workgroup_id_z 0
		.amdhsa_system_sgpr_workgroup_info 0
		.amdhsa_system_vgpr_workitem_id 0
		.amdhsa_next_free_vgpr 158
		.amdhsa_next_free_sgpr 36
		.amdhsa_accum_offset 160
		.amdhsa_reserve_vcc 1
		.amdhsa_float_round_mode_32 0
		.amdhsa_float_round_mode_16_64 0
		.amdhsa_float_denorm_mode_32 3
		.amdhsa_float_denorm_mode_16_64 3
		.amdhsa_dx10_clamp 1
		.amdhsa_ieee_mode 1
		.amdhsa_fp16_overflow 0
		.amdhsa_tg_split 0
		.amdhsa_exception_fp_ieee_invalid_op 0
		.amdhsa_exception_fp_denorm_src 0
		.amdhsa_exception_fp_ieee_div_zero 0
		.amdhsa_exception_fp_ieee_overflow 0
		.amdhsa_exception_fp_ieee_underflow 0
		.amdhsa_exception_fp_ieee_inexact 0
		.amdhsa_exception_int_div_zero 0
	.end_amdhsa_kernel
	.text
.Lfunc_end0:
	.size	fft_rtc_back_len416_factors_13_2_16_wgs_64_tpt_32_sp_ip_CI_sbrr_dirReg, .Lfunc_end0-fft_rtc_back_len416_factors_13_2_16_wgs_64_tpt_32_sp_ip_CI_sbrr_dirReg
                                        ; -- End function
	.section	.AMDGPU.csdata,"",@progbits
; Kernel info:
; codeLenInByte = 7972
; NumSgprs: 42
; NumVgprs: 158
; NumAgprs: 0
; TotalNumVgprs: 158
; ScratchSize: 0
; MemoryBound: 0
; FloatMode: 240
; IeeeMode: 1
; LDSByteSize: 0 bytes/workgroup (compile time only)
; SGPRBlocks: 5
; VGPRBlocks: 19
; NumSGPRsForWavesPerEU: 42
; NumVGPRsForWavesPerEU: 158
; AccumOffset: 160
; Occupancy: 3
; WaveLimiterHint : 1
; COMPUTE_PGM_RSRC2:SCRATCH_EN: 0
; COMPUTE_PGM_RSRC2:USER_SGPR: 2
; COMPUTE_PGM_RSRC2:TRAP_HANDLER: 0
; COMPUTE_PGM_RSRC2:TGID_X_EN: 1
; COMPUTE_PGM_RSRC2:TGID_Y_EN: 0
; COMPUTE_PGM_RSRC2:TGID_Z_EN: 0
; COMPUTE_PGM_RSRC2:TIDIG_COMP_CNT: 0
; COMPUTE_PGM_RSRC3_GFX90A:ACCUM_OFFSET: 39
; COMPUTE_PGM_RSRC3_GFX90A:TG_SPLIT: 0
	.text
	.p2alignl 6, 3212836864
	.fill 256, 4, 3212836864
	.type	__hip_cuid_3f031518c05d7875,@object ; @__hip_cuid_3f031518c05d7875
	.section	.bss,"aw",@nobits
	.globl	__hip_cuid_3f031518c05d7875
__hip_cuid_3f031518c05d7875:
	.byte	0                               ; 0x0
	.size	__hip_cuid_3f031518c05d7875, 1

	.ident	"AMD clang version 19.0.0git (https://github.com/RadeonOpenCompute/llvm-project roc-6.4.0 25133 c7fe45cf4b819c5991fe208aaa96edf142730f1d)"
	.section	".note.GNU-stack","",@progbits
	.addrsig
	.addrsig_sym __hip_cuid_3f031518c05d7875
	.amdgpu_metadata
---
amdhsa.kernels:
  - .agpr_count:     0
    .args:
      - .actual_access:  read_only
        .address_space:  global
        .offset:         0
        .size:           8
        .value_kind:     global_buffer
      - .offset:         8
        .size:           8
        .value_kind:     by_value
      - .actual_access:  read_only
        .address_space:  global
        .offset:         16
        .size:           8
        .value_kind:     global_buffer
      - .actual_access:  read_only
        .address_space:  global
        .offset:         24
        .size:           8
        .value_kind:     global_buffer
      - .offset:         32
        .size:           8
        .value_kind:     by_value
      - .actual_access:  read_only
        .address_space:  global
        .offset:         40
        .size:           8
        .value_kind:     global_buffer
      - .actual_access:  read_only
        .address_space:  global
        .offset:         48
        .size:           8
        .value_kind:     global_buffer
      - .offset:         56
        .size:           4
        .value_kind:     by_value
      - .actual_access:  read_only
        .address_space:  global
        .offset:         64
        .size:           8
        .value_kind:     global_buffer
      - .actual_access:  read_only
        .address_space:  global
        .offset:         72
        .size:           8
        .value_kind:     global_buffer
      - .address_space:  global
        .offset:         80
        .size:           8
        .value_kind:     global_buffer
    .group_segment_fixed_size: 0
    .kernarg_segment_align: 8
    .kernarg_segment_size: 88
    .language:       OpenCL C
    .language_version:
      - 2
      - 0
    .max_flat_workgroup_size: 64
    .name:           fft_rtc_back_len416_factors_13_2_16_wgs_64_tpt_32_sp_ip_CI_sbrr_dirReg
    .private_segment_fixed_size: 0
    .sgpr_count:     42
    .sgpr_spill_count: 0
    .symbol:         fft_rtc_back_len416_factors_13_2_16_wgs_64_tpt_32_sp_ip_CI_sbrr_dirReg.kd
    .uniform_work_group_size: 1
    .uses_dynamic_stack: false
    .vgpr_count:     158
    .vgpr_spill_count: 0
    .wavefront_size: 64
amdhsa.target:   amdgcn-amd-amdhsa--gfx950
amdhsa.version:
  - 1
  - 2
...

	.end_amdgpu_metadata
